;; amdgpu-corpus repo=ROCm/rocFFT kind=compiled arch=gfx906 opt=O3
	.text
	.amdgcn_target "amdgcn-amd-amdhsa--gfx906"
	.amdhsa_code_object_version 6
	.protected	fft_rtc_back_len448_factors_8_7_8_wgs_128_tpt_64_half_op_CI_CI_sbrr_dirReg ; -- Begin function fft_rtc_back_len448_factors_8_7_8_wgs_128_tpt_64_half_op_CI_CI_sbrr_dirReg
	.globl	fft_rtc_back_len448_factors_8_7_8_wgs_128_tpt_64_half_op_CI_CI_sbrr_dirReg
	.p2align	8
	.type	fft_rtc_back_len448_factors_8_7_8_wgs_128_tpt_64_half_op_CI_CI_sbrr_dirReg,@function
fft_rtc_back_len448_factors_8_7_8_wgs_128_tpt_64_half_op_CI_CI_sbrr_dirReg: ; @fft_rtc_back_len448_factors_8_7_8_wgs_128_tpt_64_half_op_CI_CI_sbrr_dirReg
; %bb.0:
	s_load_dwordx4 s[16:19], s[4:5], 0x18
	s_load_dwordx4 s[12:15], s[4:5], 0x0
	;; [unrolled: 1-line block ×3, first 2 shown]
	v_lshrrev_b32_e32 v1, 6, v0
	v_mov_b32_e32 v7, 0
	s_waitcnt lgkmcnt(0)
	s_load_dwordx2 s[22:23], s[16:17], 0x0
	s_load_dwordx2 s[20:21], s[18:19], 0x0
	v_cmp_lt_u64_e64 s[0:1], s[14:15], 2
	v_mov_b32_e32 v5, 0
	v_lshl_or_b32 v9, s6, 1, v1
	v_mov_b32_e32 v10, v7
	s_and_b64 vcc, exec, s[0:1]
	v_mov_b32_e32 v6, 0
	s_cbranch_vccnz .LBB0_8
; %bb.1:
	s_load_dwordx2 s[0:1], s[4:5], 0x10
	s_add_u32 s2, s18, 8
	s_addc_u32 s3, s19, 0
	s_add_u32 s6, s16, 8
	s_addc_u32 s7, s17, 0
	v_mov_b32_e32 v5, 0
	s_waitcnt lgkmcnt(0)
	s_add_u32 s24, s0, 8
	v_mov_b32_e32 v6, 0
	v_mov_b32_e32 v1, v5
	s_addc_u32 s25, s1, 0
	s_mov_b64 s[26:27], 1
	v_mov_b32_e32 v2, v6
.LBB0_2:                                ; =>This Inner Loop Header: Depth=1
	s_load_dwordx2 s[28:29], s[24:25], 0x0
                                        ; implicit-def: $vgpr3_vgpr4
	s_waitcnt lgkmcnt(0)
	v_or_b32_e32 v8, s29, v10
	v_cmp_ne_u64_e32 vcc, 0, v[7:8]
	s_and_saveexec_b64 s[0:1], vcc
	s_xor_b64 s[30:31], exec, s[0:1]
	s_cbranch_execz .LBB0_4
; %bb.3:                                ;   in Loop: Header=BB0_2 Depth=1
	v_cvt_f32_u32_e32 v3, s28
	v_cvt_f32_u32_e32 v4, s29
	s_sub_u32 s0, 0, s28
	s_subb_u32 s1, 0, s29
	v_mac_f32_e32 v3, 0x4f800000, v4
	v_rcp_f32_e32 v3, v3
	v_mul_f32_e32 v3, 0x5f7ffffc, v3
	v_mul_f32_e32 v4, 0x2f800000, v3
	v_trunc_f32_e32 v4, v4
	v_mac_f32_e32 v3, 0xcf800000, v4
	v_cvt_u32_f32_e32 v4, v4
	v_cvt_u32_f32_e32 v3, v3
	v_mul_lo_u32 v8, s0, v4
	v_mul_hi_u32 v11, s0, v3
	v_mul_lo_u32 v13, s1, v3
	v_mul_lo_u32 v12, s0, v3
	v_add_u32_e32 v8, v11, v8
	v_add_u32_e32 v8, v8, v13
	v_mul_hi_u32 v11, v3, v12
	v_mul_lo_u32 v13, v3, v8
	v_mul_hi_u32 v15, v3, v8
	v_mul_hi_u32 v14, v4, v12
	v_mul_lo_u32 v12, v4, v12
	v_mul_hi_u32 v16, v4, v8
	v_add_co_u32_e32 v11, vcc, v11, v13
	v_addc_co_u32_e32 v13, vcc, 0, v15, vcc
	v_mul_lo_u32 v8, v4, v8
	v_add_co_u32_e32 v11, vcc, v11, v12
	v_addc_co_u32_e32 v11, vcc, v13, v14, vcc
	v_addc_co_u32_e32 v12, vcc, 0, v16, vcc
	v_add_co_u32_e32 v8, vcc, v11, v8
	v_addc_co_u32_e32 v11, vcc, 0, v12, vcc
	v_add_co_u32_e32 v3, vcc, v3, v8
	v_addc_co_u32_e32 v4, vcc, v4, v11, vcc
	v_mul_lo_u32 v8, s0, v4
	v_mul_hi_u32 v11, s0, v3
	v_mul_lo_u32 v12, s1, v3
	v_mul_lo_u32 v13, s0, v3
	v_add_u32_e32 v8, v11, v8
	v_add_u32_e32 v8, v8, v12
	v_mul_lo_u32 v14, v3, v8
	v_mul_hi_u32 v15, v3, v13
	v_mul_hi_u32 v16, v3, v8
	;; [unrolled: 1-line block ×3, first 2 shown]
	v_mul_lo_u32 v13, v4, v13
	v_mul_hi_u32 v11, v4, v8
	v_add_co_u32_e32 v14, vcc, v15, v14
	v_addc_co_u32_e32 v15, vcc, 0, v16, vcc
	v_mul_lo_u32 v8, v4, v8
	v_add_co_u32_e32 v13, vcc, v14, v13
	v_addc_co_u32_e32 v12, vcc, v15, v12, vcc
	v_addc_co_u32_e32 v11, vcc, 0, v11, vcc
	v_add_co_u32_e32 v8, vcc, v12, v8
	v_addc_co_u32_e32 v11, vcc, 0, v11, vcc
	v_add_co_u32_e32 v8, vcc, v3, v8
	v_addc_co_u32_e32 v11, vcc, v4, v11, vcc
	v_mad_u64_u32 v[3:4], s[0:1], v9, v11, 0
	v_mul_hi_u32 v12, v9, v8
	v_add_co_u32_e32 v13, vcc, v12, v3
	v_addc_co_u32_e32 v14, vcc, 0, v4, vcc
	v_mad_u64_u32 v[3:4], s[0:1], v10, v8, 0
	v_mad_u64_u32 v[11:12], s[0:1], v10, v11, 0
	v_add_co_u32_e32 v3, vcc, v13, v3
	v_addc_co_u32_e32 v3, vcc, v14, v4, vcc
	v_addc_co_u32_e32 v4, vcc, 0, v12, vcc
	v_add_co_u32_e32 v8, vcc, v3, v11
	v_addc_co_u32_e32 v11, vcc, 0, v4, vcc
	v_mul_lo_u32 v12, s29, v8
	v_mul_lo_u32 v13, s28, v11
	v_mad_u64_u32 v[3:4], s[0:1], s28, v8, 0
	v_add3_u32 v4, v4, v13, v12
	v_sub_u32_e32 v12, v10, v4
	v_mov_b32_e32 v13, s29
	v_sub_co_u32_e32 v3, vcc, v9, v3
	v_subb_co_u32_e64 v12, s[0:1], v12, v13, vcc
	v_subrev_co_u32_e64 v13, s[0:1], s28, v3
	v_subbrev_co_u32_e64 v12, s[0:1], 0, v12, s[0:1]
	v_cmp_le_u32_e64 s[0:1], s29, v12
	v_cndmask_b32_e64 v14, 0, -1, s[0:1]
	v_cmp_le_u32_e64 s[0:1], s28, v13
	v_cndmask_b32_e64 v13, 0, -1, s[0:1]
	v_cmp_eq_u32_e64 s[0:1], s29, v12
	v_cndmask_b32_e64 v12, v14, v13, s[0:1]
	v_add_co_u32_e64 v13, s[0:1], 2, v8
	v_addc_co_u32_e64 v14, s[0:1], 0, v11, s[0:1]
	v_add_co_u32_e64 v15, s[0:1], 1, v8
	v_addc_co_u32_e64 v16, s[0:1], 0, v11, s[0:1]
	v_subb_co_u32_e32 v4, vcc, v10, v4, vcc
	v_cmp_ne_u32_e64 s[0:1], 0, v12
	v_cmp_le_u32_e32 vcc, s29, v4
	v_cndmask_b32_e64 v12, v16, v14, s[0:1]
	v_cndmask_b32_e64 v14, 0, -1, vcc
	v_cmp_le_u32_e32 vcc, s28, v3
	v_cndmask_b32_e64 v3, 0, -1, vcc
	v_cmp_eq_u32_e32 vcc, s29, v4
	v_cndmask_b32_e32 v3, v14, v3, vcc
	v_cmp_ne_u32_e32 vcc, 0, v3
	v_cndmask_b32_e64 v3, v15, v13, s[0:1]
	v_cndmask_b32_e32 v4, v11, v12, vcc
	v_cndmask_b32_e32 v3, v8, v3, vcc
.LBB0_4:                                ;   in Loop: Header=BB0_2 Depth=1
	s_andn2_saveexec_b64 s[0:1], s[30:31]
	s_cbranch_execz .LBB0_6
; %bb.5:                                ;   in Loop: Header=BB0_2 Depth=1
	v_cvt_f32_u32_e32 v3, s28
	s_sub_i32 s30, 0, s28
	v_rcp_iflag_f32_e32 v3, v3
	v_mul_f32_e32 v3, 0x4f7ffffe, v3
	v_cvt_u32_f32_e32 v3, v3
	v_mul_lo_u32 v4, s30, v3
	v_mul_hi_u32 v4, v3, v4
	v_add_u32_e32 v3, v3, v4
	v_mul_hi_u32 v3, v9, v3
	v_mul_lo_u32 v4, v3, s28
	v_add_u32_e32 v8, 1, v3
	v_sub_u32_e32 v4, v9, v4
	v_subrev_u32_e32 v11, s28, v4
	v_cmp_le_u32_e32 vcc, s28, v4
	v_cndmask_b32_e32 v4, v4, v11, vcc
	v_cndmask_b32_e32 v3, v3, v8, vcc
	v_add_u32_e32 v8, 1, v3
	v_cmp_le_u32_e32 vcc, s28, v4
	v_cndmask_b32_e32 v3, v3, v8, vcc
	v_mov_b32_e32 v4, v7
.LBB0_6:                                ;   in Loop: Header=BB0_2 Depth=1
	s_or_b64 exec, exec, s[0:1]
	v_mul_lo_u32 v8, v4, s28
	v_mul_lo_u32 v13, v3, s29
	v_mad_u64_u32 v[11:12], s[0:1], v3, s28, 0
	s_load_dwordx2 s[0:1], s[6:7], 0x0
	s_load_dwordx2 s[28:29], s[2:3], 0x0
	v_add3_u32 v8, v12, v13, v8
	v_sub_co_u32_e32 v9, vcc, v9, v11
	v_subb_co_u32_e32 v8, vcc, v10, v8, vcc
	s_waitcnt lgkmcnt(0)
	v_mul_lo_u32 v10, s0, v8
	v_mul_lo_u32 v11, s1, v9
	v_mad_u64_u32 v[5:6], s[0:1], s0, v9, v[5:6]
	v_mul_lo_u32 v8, s28, v8
	v_mul_lo_u32 v12, s29, v9
	v_mad_u64_u32 v[1:2], s[0:1], s28, v9, v[1:2]
	s_add_u32 s26, s26, 1
	s_addc_u32 s27, s27, 0
	s_add_u32 s2, s2, 8
	v_add3_u32 v2, v12, v2, v8
	s_addc_u32 s3, s3, 0
	v_mov_b32_e32 v8, s14
	s_add_u32 s6, s6, 8
	v_mov_b32_e32 v9, s15
	s_addc_u32 s7, s7, 0
	v_cmp_ge_u64_e32 vcc, s[26:27], v[8:9]
	s_add_u32 s24, s24, 8
	v_add3_u32 v6, v11, v6, v10
	s_addc_u32 s25, s25, 0
	s_cbranch_vccnz .LBB0_9
; %bb.7:                                ;   in Loop: Header=BB0_2 Depth=1
	v_mov_b32_e32 v10, v4
	v_mov_b32_e32 v9, v3
	s_branch .LBB0_2
.LBB0_8:
	v_mov_b32_e32 v1, v5
	v_mov_b32_e32 v3, v9
	;; [unrolled: 1-line block ×4, first 2 shown]
.LBB0_9:
	s_load_dwordx2 s[2:3], s[4:5], 0x28
	s_lshl_b64 s[6:7], s[14:15], 3
	s_add_u32 s4, s18, s6
	v_and_b32_e32 v7, 64, v0
	s_addc_u32 s5, s19, s7
	s_waitcnt lgkmcnt(0)
	v_cmp_gt_u64_e32 vcc, s[2:3], v[3:4]
	v_cmp_le_u64_e64 s[2:3], s[2:3], v[3:4]
	v_cmp_ne_u32_e64 s[0:1], 0, v7
	v_mov_b32_e32 v7, 0x1c0
	v_and_b32_e32 v11, 63, v0
	s_and_saveexec_b64 s[14:15], s[2:3]
	s_xor_b64 s[2:3], exec, s[14:15]
; %bb.10:
	v_and_b32_e32 v11, 63, v0
                                        ; implicit-def: $vgpr5_vgpr6
; %bb.11:
	s_or_saveexec_b64 s[2:3], s[2:3]
	v_cndmask_b32_e64 v7, 0, v7, s[0:1]
	v_lshlrev_b32_e32 v17, 2, v7
	s_xor_b64 exec, exec, s[2:3]
	s_cbranch_execz .LBB0_13
; %bb.12:
	s_add_u32 s0, s16, s6
	s_addc_u32 s1, s17, s7
	s_load_dwordx2 s[0:1], s[0:1], 0x0
	v_mad_u64_u32 v[8:9], s[6:7], s22, v11, 0
	v_lshlrev_b64 v[5:6], 2, v[5:6]
	v_or_b32_e32 v18, 0xc0, v11
	s_waitcnt lgkmcnt(0)
	v_mul_lo_u32 v14, s1, v3
	v_mul_lo_u32 v15, s0, v4
	v_mad_u64_u32 v[12:13], s[0:1], s0, v3, 0
	v_mad_u64_u32 v[9:10], s[0:1], s23, v11, v[9:10]
	v_add3_u32 v13, v13, v15, v14
	v_lshlrev_b64 v[12:13], 2, v[12:13]
	v_mov_b32_e32 v10, s9
	v_add_co_u32_e64 v14, s[0:1], s8, v12
	v_or_b32_e32 v15, 64, v11
	v_addc_co_u32_e64 v10, s[0:1], v10, v13, s[0:1]
	v_mad_u64_u32 v[12:13], s[0:1], s22, v15, 0
	v_add_co_u32_e64 v26, s[0:1], v14, v5
	v_addc_co_u32_e64 v27, s[0:1], v10, v6, s[0:1]
	v_lshlrev_b64 v[5:6], 2, v[8:9]
	v_mov_b32_e32 v8, v13
	v_mad_u64_u32 v[8:9], s[0:1], s23, v15, v[8:9]
	v_or_b32_e32 v14, 0x80, v11
	v_mad_u64_u32 v[9:10], s[0:1], s22, v14, 0
	v_add_co_u32_e64 v5, s[0:1], v26, v5
	v_mov_b32_e32 v13, v8
	v_mov_b32_e32 v8, v10
	v_addc_co_u32_e64 v6, s[0:1], v27, v6, s[0:1]
	v_mad_u64_u32 v[14:15], s[0:1], s23, v14, v[8:9]
	v_mad_u64_u32 v[15:16], s[0:1], s22, v18, 0
	v_lshlrev_b64 v[12:13], 2, v[12:13]
	v_mov_b32_e32 v10, v14
	v_add_co_u32_e64 v12, s[0:1], v26, v12
	v_lshlrev_b64 v[8:9], 2, v[9:10]
	v_mov_b32_e32 v10, v16
	v_addc_co_u32_e64 v13, s[0:1], v27, v13, s[0:1]
	v_mad_u64_u32 v[18:19], s[0:1], s23, v18, v[10:11]
	v_or_b32_e32 v21, 0x100, v11
	v_mad_u64_u32 v[19:20], s[0:1], s22, v21, 0
	v_add_co_u32_e64 v8, s[0:1], v26, v8
	v_mov_b32_e32 v16, v18
	v_mov_b32_e32 v10, v20
	v_addc_co_u32_e64 v9, s[0:1], v27, v9, s[0:1]
	v_lshlrev_b64 v[14:15], 2, v[15:16]
	v_mad_u64_u32 v[20:21], s[0:1], s23, v21, v[10:11]
	v_or_b32_e32 v16, 0x140, v11
	v_mad_u64_u32 v[21:22], s[0:1], s22, v16, 0
	v_add_co_u32_e64 v14, s[0:1], v26, v14
	v_mov_b32_e32 v10, v22
	v_addc_co_u32_e64 v15, s[0:1], v27, v15, s[0:1]
	v_mad_u64_u32 v[22:23], s[0:1], s23, v16, v[10:11]
	v_or_b32_e32 v16, 0x180, v11
	v_mad_u64_u32 v[23:24], s[0:1], s22, v16, 0
	v_lshlrev_b64 v[18:19], 2, v[19:20]
	v_lshlrev_b64 v[20:21], 2, v[21:22]
	v_add_co_u32_e64 v18, s[0:1], v26, v18
	v_mov_b32_e32 v10, v24
	v_addc_co_u32_e64 v19, s[0:1], v27, v19, s[0:1]
	v_mad_u64_u32 v[24:25], s[0:1], s23, v16, v[10:11]
	v_add_co_u32_e64 v20, s[0:1], v26, v20
	v_lshlrev_b64 v[22:23], 2, v[23:24]
	v_addc_co_u32_e64 v21, s[0:1], v27, v21, s[0:1]
	v_add_co_u32_e64 v22, s[0:1], v26, v22
	v_addc_co_u32_e64 v23, s[0:1], v27, v23, s[0:1]
	global_load_dword v10, v[5:6], off
	global_load_dword v16, v[12:13], off
	;; [unrolled: 1-line block ×7, first 2 shown]
	v_or_b32_e32 v5, v7, v11
	v_lshl_add_u32 v5, v5, 2, 0
	s_waitcnt vmcnt(6)
	ds_write_b32 v5, v10
	v_lshlrev_b32_e32 v5, 2, v11
	v_add3_u32 v5, 0, v17, v5
	s_waitcnt vmcnt(4)
	ds_write2st64_b32 v5, v16, v24 offset0:1 offset1:2
	s_waitcnt vmcnt(2)
	ds_write2st64_b32 v5, v25, v26 offset0:3 offset1:4
	s_waitcnt vmcnt(0)
	ds_write2st64_b32 v5, v27, v28 offset0:5 offset1:6
.LBB0_13:
	s_or_b64 exec, exec, s[2:3]
	v_lshlrev_b32_e32 v5, 2, v11
	v_add_u32_e32 v9, 0, v5
	v_add_u32_e32 v12, 0, v17
	;; [unrolled: 1-line block ×3, first 2 shown]
	s_waitcnt lgkmcnt(0)
	s_barrier
	v_add_u32_e32 v14, v12, v5
	ds_read2_b32 v[5:6], v13 offset0:56 offset1:112
	ds_read2_b32 v[7:8], v13 offset0:168 offset1:224
	v_add_u32_e32 v15, 0x400, v13
	ds_read_b32 v10, v14
	ds_read2_b32 v[15:16], v15 offset0:24 offset1:80
	ds_read_b32 v18, v13 offset:1568
	s_movk_i32 s6, 0x39a8
	s_mov_b32 s7, 0xb9a8
	s_waitcnt lgkmcnt(2)
	v_pk_add_f16 v19, v10, v8 neg_lo:[0,1] neg_hi:[0,1]
	s_waitcnt lgkmcnt(1)
	v_pk_add_f16 v8, v5, v15 neg_lo:[0,1] neg_hi:[0,1]
	v_pk_add_f16 v20, v6, v16 neg_lo:[0,1] neg_hi:[0,1]
	s_waitcnt lgkmcnt(0)
	v_pk_add_f16 v18, v7, v18 neg_lo:[0,1] neg_hi:[0,1]
	v_lshrrev_b32_e32 v21, 16, v19
	v_lshrrev_b32_e32 v25, 16, v8
	v_add_f16_sdwa v23, v19, v20 dst_sel:DWORD dst_unused:UNUSED_PAD src0_sel:DWORD src1_sel:WORD_1
	v_sub_f16_e32 v22, v21, v20
	v_add_f16_sdwa v24, v8, v18 dst_sel:DWORD dst_unused:UNUSED_PAD src0_sel:DWORD src1_sel:WORD_1
	v_sub_f16_e32 v26, v25, v18
	v_fma_f16 v15, v24, s6, v23
	v_fma_f16 v16, v26, s6, v22
	;; [unrolled: 1-line block ×4, first 2 shown]
	v_cmp_gt_u32_e64 s[0:1], 56, v11
	s_barrier
	s_and_saveexec_b64 s[2:3], s[0:1]
	s_cbranch_execz .LBB0_15
; %bb.14:
	v_pk_fma_f16 v10, v10, 2.0, v19 op_sel_hi:[1,0,1] neg_lo:[0,0,1] neg_hi:[0,0,1]
	v_pk_fma_f16 v6, v6, 2.0, v20 op_sel_hi:[1,0,1] neg_lo:[0,0,1] neg_hi:[0,0,1]
	v_pk_add_f16 v6, v10, v6 neg_lo:[0,1] neg_hi:[0,1]
	v_pk_fma_f16 v5, v5, 2.0, v8 op_sel_hi:[1,0,1] neg_lo:[0,0,1] neg_hi:[0,0,1]
	v_pk_fma_f16 v7, v7, 2.0, v18 op_sel_hi:[1,0,1] neg_lo:[0,0,1] neg_hi:[0,0,1]
	v_fma_f16 v25, v25, 2.0, -v26
	v_fma_f16 v21, v21, 2.0, -v22
	v_pk_add_f16 v7, v5, v7 neg_lo:[0,1] neg_hi:[0,1]
	v_lshrrev_b32_e32 v18, 16, v6
	v_fma_f16 v27, v23, 2.0, -v15
	v_fma_f16 v28, v22, 2.0, -v16
	v_fma_f16 v23, v19, 2.0, -v23
	v_fma_f16 v24, v8, 2.0, -v24
	v_fma_f16 v22, v25, s7, v21
	v_add_f16_sdwa v8, v6, v7 dst_sel:DWORD dst_unused:UNUSED_PAD src0_sel:DWORD src1_sel:WORD_1
	v_sub_f16_e32 v19, v18, v7
	v_fma_f16 v26, v24, s7, v23
	v_fma_f16 v22, v24, s7, v22
	v_mul_u32_u24_e32 v24, 28, v11
	v_pk_fma_f16 v10, v10, 2.0, v6 op_sel_hi:[1,0,1] neg_lo:[0,0,1] neg_hi:[0,0,1]
	v_pk_fma_f16 v5, v5, 2.0, v7 op_sel_hi:[1,0,1] neg_lo:[0,0,1] neg_hi:[0,0,1]
	v_fma_f16 v6, v6, 2.0, -v8
	v_fma_f16 v7, v18, 2.0, -v19
	v_fma_f16 v26, v25, s6, v26
	v_add3_u32 v9, v9, v24, v17
	v_pack_b32_f16 v6, v6, v7
	v_pack_b32_f16 v7, v27, v28
	v_fma_f16 v23, v23, 2.0, -v26
	v_fma_f16 v21, v21, 2.0, -v22
	v_pk_add_f16 v5, v10, v5 neg_lo:[0,1] neg_hi:[0,1]
	ds_write2_b32 v9, v6, v7 offset0:2 offset1:3
	v_pack_b32_f16 v6, v26, v22
	s_mov_b32 s6, 0x5040100
	v_pk_fma_f16 v10, v10, 2.0, v5 op_sel_hi:[1,0,1] neg_lo:[0,0,1] neg_hi:[0,0,1]
	v_pack_b32_f16 v18, v23, v21
	ds_write2_b32 v9, v5, v6 offset0:4 offset1:5
	v_pack_b32_f16 v5, v8, v19
	v_perm_b32 v6, v16, v15, s6
	ds_write2_b32 v9, v10, v18 offset1:1
	ds_write2_b32 v9, v5, v6 offset0:6 offset1:7
.LBB0_15:
	s_or_b64 exec, exec, s[2:3]
	v_and_b32_e32 v25, 7, v0
	v_mul_u32_u24_e32 v0, 6, v25
	v_lshlrev_b32_e32 v0, 2, v0
	s_load_dwordx2 s[2:3], s[4:5], 0x0
	s_waitcnt lgkmcnt(0)
	s_barrier
	global_load_dwordx4 v[5:8], v0, s[12:13]
	global_load_dwordx2 v[9:10], v0, s[12:13] offset:16
	ds_read_b32 v24, v14
	ds_read2st64_b32 v[18:19], v13 offset0:1 offset1:2
	ds_read2st64_b32 v[20:21], v13 offset0:3 offset1:4
	;; [unrolled: 1-line block ×3, first 2 shown]
	s_movk_i32 s4, 0x2b26
	s_mov_b32 s5, 0xbb00
	s_waitcnt lgkmcnt(2)
	v_lshrrev_b32_e32 v0, 16, v18
	v_lshrrev_b32_e32 v26, 16, v19
	s_waitcnt lgkmcnt(1)
	v_lshrrev_b32_e32 v27, 16, v20
	v_lshrrev_b32_e32 v28, 16, v21
	;; [unrolled: 3-line block ×3, first 2 shown]
	s_mov_b32 s6, 0xbcab
	s_waitcnt vmcnt(0)
	s_barrier
	v_mul_f16_sdwa v31, v5, v0 dst_sel:DWORD dst_unused:UNUSED_PAD src0_sel:WORD_1 src1_sel:DWORD
	v_mul_f16_sdwa v33, v6, v26 dst_sel:DWORD dst_unused:UNUSED_PAD src0_sel:WORD_1 src1_sel:DWORD
	v_mul_f16_sdwa v35, v7, v27 dst_sel:DWORD dst_unused:UNUSED_PAD src0_sel:WORD_1 src1_sel:DWORD
	v_mul_f16_sdwa v37, v8, v28 dst_sel:DWORD dst_unused:UNUSED_PAD src0_sel:WORD_1 src1_sel:DWORD
	v_mul_f16_sdwa v32, v5, v18 dst_sel:DWORD dst_unused:UNUSED_PAD src0_sel:WORD_1 src1_sel:DWORD
	v_mul_f16_sdwa v34, v6, v19 dst_sel:DWORD dst_unused:UNUSED_PAD src0_sel:WORD_1 src1_sel:DWORD
	v_mul_f16_sdwa v36, v7, v20 dst_sel:DWORD dst_unused:UNUSED_PAD src0_sel:WORD_1 src1_sel:DWORD
	v_mul_f16_sdwa v38, v8, v21 dst_sel:DWORD dst_unused:UNUSED_PAD src0_sel:WORD_1 src1_sel:DWORD
	v_fma_f16 v18, v5, v18, v31
	v_fma_f16 v19, v6, v19, v33
	v_mul_f16_sdwa v31, v9, v29 dst_sel:DWORD dst_unused:UNUSED_PAD src0_sel:WORD_1 src1_sel:DWORD
	v_mul_f16_sdwa v33, v9, v22 dst_sel:DWORD dst_unused:UNUSED_PAD src0_sel:WORD_1 src1_sel:DWORD
	v_fma_f16 v20, v7, v20, v35
	v_fma_f16 v21, v8, v21, v37
	v_mul_f16_sdwa v35, v10, v30 dst_sel:DWORD dst_unused:UNUSED_PAD src0_sel:WORD_1 src1_sel:DWORD
	v_mul_f16_sdwa v37, v10, v23 dst_sel:DWORD dst_unused:UNUSED_PAD src0_sel:WORD_1 src1_sel:DWORD
	v_fma_f16 v0, v5, v0, -v32
	v_fma_f16 v5, v6, v26, -v34
	;; [unrolled: 1-line block ×4, first 2 shown]
	v_fma_f16 v8, v9, v22, v31
	v_fma_f16 v9, v9, v29, -v33
	v_fma_f16 v22, v10, v23, v35
	v_fma_f16 v10, v10, v30, -v37
	v_add_f16_e32 v23, v18, v22
	v_add_f16_e32 v26, v0, v10
	v_sub_f16_e32 v18, v18, v22
	v_sub_f16_e32 v0, v0, v10
	v_add_f16_e32 v10, v19, v8
	v_add_f16_e32 v22, v5, v9
	v_sub_f16_e32 v8, v19, v8
	v_sub_f16_e32 v5, v5, v9
	;; [unrolled: 4-line block ×4, first 2 shown]
	v_sub_f16_e32 v23, v23, v9
	v_sub_f16_e32 v26, v26, v19
	;; [unrolled: 1-line block ×4, first 2 shown]
	v_add_f16_e32 v29, v20, v8
	v_add_f16_e32 v30, v6, v5
	v_mul_f16_e32 v23, 0x3a52, v23
	v_mul_f16_e32 v26, 0x3a52, v26
	v_add_f16_e32 v7, v9, v7
	v_add_f16_e32 v9, v19, v21
	;; [unrolled: 1-line block ×4, first 2 shown]
	v_mul_f16_e32 v29, 0x2b26, v10
	v_mul_f16_e32 v30, 0x2b26, v22
	v_fma_f16 v10, v10, s4, v23
	v_fma_f16 v22, v22, s4, v26
	s_movk_i32 s4, 0x39e0
	v_sub_f16_e32 v31, v20, v8
	v_sub_f16_e32 v32, v6, v5
	;; [unrolled: 1-line block ×6, first 2 shown]
	v_add_f16_e32 v0, v7, v24
	v_add_f16_sdwa v18, v9, v24 dst_sel:DWORD dst_unused:UNUSED_PAD src0_sel:DWORD src1_sel:WORD_1
	v_fma_f16 v24, v27, s4, -v29
	v_fma_f16 v29, v28, s4, -v30
	s_mov_b32 s4, 0xb9e0
	v_mul_f16_e32 v31, 0x3846, v31
	v_mul_f16_e32 v32, 0x3846, v32
	v_fma_f16 v23, v27, s4, -v23
	v_fma_f16 v26, v28, s4, -v26
	s_mov_b32 s4, 0xb574
	v_mul_f16_e32 v33, 0xbb00, v8
	v_mul_f16_e32 v34, 0xbb00, v5
	v_fma_f16 v27, v20, s4, v31
	v_fma_f16 v28, v6, s4, v32
	s_movk_i32 s4, 0x3574
	v_fma_f16 v7, v7, s6, v0
	v_fma_f16 v9, v9, s6, v18
	v_fma_f16 v5, v5, s5, -v32
	v_fma_f16 v20, v20, s4, -v33
	;; [unrolled: 1-line block ×3, first 2 shown]
	s_mov_b32 s4, 0xb70e
	v_fma_f16 v8, v8, s5, -v31
	v_add_f16_e32 v30, v10, v7
	v_add_f16_e32 v31, v22, v9
	;; [unrolled: 1-line block ×6, first 2 shown]
	v_fma_f16 v26, v19, s4, v27
	v_fma_f16 v5, v21, s4, v5
	;; [unrolled: 1-line block ×6, first 2 shown]
	v_sub_f16_e32 v19, v31, v26
	v_add_f16_e32 v8, v6, v23
	v_sub_f16_e32 v20, v24, v29
	v_sub_f16_e32 v9, v10, v5
	v_add_f16_e32 v10, v5, v10
	v_sub_f16_e32 v5, v23, v6
	v_add_f16_e32 v23, v29, v24
	v_add_f16_e32 v24, v26, v31
	v_lshrrev_b32_e32 v26, 3, v11
	v_mul_u32_u24_e32 v26, 56, v26
	v_or_b32_e32 v25, v26, v25
	v_add_f16_e32 v7, v27, v30
	v_lshlrev_b32_e32 v25, 2, v25
	v_add_f16_e32 v21, v28, v22
	v_add3_u32 v17, 0, v25, v17
	v_pack_b32_f16 v25, v0, v18
	v_pack_b32_f16 v26, v7, v19
	v_sub_f16_e32 v22, v22, v28
	ds_write2_b32 v17, v25, v26 offset1:8
	v_pack_b32_f16 v25, v8, v20
	v_pack_b32_f16 v26, v9, v21
	v_sub_f16_e32 v6, v30, v27
	ds_write2_b32 v17, v25, v26 offset0:16 offset1:24
	v_pack_b32_f16 v25, v10, v22
	v_pack_b32_f16 v26, v5, v23
	ds_write2_b32 v17, v25, v26 offset0:32 offset1:40
	v_pack_b32_f16 v25, v6, v24
	ds_write_b32 v17, v25 offset:192
	s_waitcnt lgkmcnt(0)
	s_barrier
	s_and_saveexec_b64 s[4:5], s[0:1]
	s_cbranch_execz .LBB0_17
; %bb.16:
	v_add_u32_e32 v5, 0x400, v13
	ds_read_b32 v0, v14
	ds_read2_b32 v[7:8], v13 offset0:56 offset1:112
	ds_read2_b32 v[9:10], v13 offset0:168 offset1:224
	ds_read_b32 v15, v13 offset:1568
	ds_read2_b32 v[5:6], v5 offset0:24 offset1:80
	s_waitcnt lgkmcnt(4)
	v_lshrrev_b32_e32 v18, 16, v0
	s_waitcnt lgkmcnt(3)
	v_lshrrev_b32_e32 v19, 16, v7
	v_lshrrev_b32_e32 v20, 16, v8
	s_waitcnt lgkmcnt(2)
	v_lshrrev_b32_e32 v21, 16, v9
	;; [unrolled: 3-line block ×3, first 2 shown]
	v_lshrrev_b32_e32 v24, 16, v6
	v_lshrrev_b32_e32 v16, 16, v15
.LBB0_17:
	s_or_b64 exec, exec, s[4:5]
	s_barrier
	s_and_saveexec_b64 s[4:5], s[0:1]
	s_cbranch_execz .LBB0_19
; %bb.18:
	v_subrev_u32_e32 v17, 56, v11
	v_cndmask_b32_e64 v17, v17, v11, s[0:1]
	v_mul_i32_i24_e32 v25, 7, v17
	v_mov_b32_e32 v26, 0
	v_lshlrev_b64 v[25:26], 2, v[25:26]
	v_mov_b32_e32 v17, s13
	v_add_co_u32_e64 v32, s[0:1], s12, v25
	v_addc_co_u32_e64 v33, s[0:1], v17, v26, s[0:1]
	global_load_dwordx4 v[25:28], v[32:33], off offset:192
	global_load_dwordx3 v[29:31], v[32:33], off offset:208
	s_movk_i32 s0, 0x39a8
	s_mov_b32 s1, 0xb9a8
	s_waitcnt vmcnt(1)
	v_mul_f16_sdwa v17, v19, v25 dst_sel:DWORD dst_unused:UNUSED_PAD src0_sel:DWORD src1_sel:WORD_1
	v_mul_f16_sdwa v32, v20, v26 dst_sel:DWORD dst_unused:UNUSED_PAD src0_sel:DWORD src1_sel:WORD_1
	;; [unrolled: 1-line block ×8, first 2 shown]
	s_waitcnt vmcnt(0)
	v_mul_f16_sdwa v39, v6, v30 dst_sel:DWORD dst_unused:UNUSED_PAD src0_sel:DWORD src1_sel:WORD_1
	v_mul_f16_sdwa v40, v5, v29 dst_sel:DWORD dst_unused:UNUSED_PAD src0_sel:DWORD src1_sel:WORD_1
	v_fma_f16 v7, v7, v25, v17
	v_fma_f16 v8, v8, v26, v32
	v_mul_f16_sdwa v17, v16, v31 dst_sel:DWORD dst_unused:UNUSED_PAD src0_sel:DWORD src1_sel:WORD_1
	v_mul_f16_sdwa v32, v23, v29 dst_sel:DWORD dst_unused:UNUSED_PAD src0_sel:DWORD src1_sel:WORD_1
	v_fma_f16 v10, v10, v28, v35
	v_fma_f16 v9, v9, v27, v36
	v_mul_f16_sdwa v35, v15, v31 dst_sel:DWORD dst_unused:UNUSED_PAD src0_sel:DWORD src1_sel:WORD_1
	v_mul_f16_sdwa v36, v24, v30 dst_sel:DWORD dst_unused:UNUSED_PAD src0_sel:DWORD src1_sel:WORD_1
	v_fma_f16 v21, v21, v27, -v37
	v_fma_f16 v19, v19, v25, -v34
	;; [unrolled: 1-line block ×5, first 2 shown]
	v_fma_f16 v15, v15, v31, v17
	v_fma_f16 v17, v24, v30, -v39
	v_fma_f16 v5, v5, v29, v32
	v_fma_f16 v16, v16, v31, -v35
	v_fma_f16 v6, v6, v30, v36
	v_sub_f16_e32 v10, v0, v10
	v_sub_f16_e32 v17, v20, v17
	v_sub_f16_e32 v23, v19, v23
	v_sub_f16_e32 v15, v9, v15
	v_sub_f16_e32 v5, v7, v5
	v_sub_f16_e32 v16, v21, v16
	v_sub_f16_e32 v22, v18, v22
	v_sub_f16_e32 v6, v8, v6
	v_add_f16_e32 v24, v10, v17
	v_add_f16_e32 v26, v5, v16
	v_sub_f16_e32 v27, v22, v6
	v_fma_f16 v0, v0, 2.0, -v10
	v_fma_f16 v6, v8, 2.0, -v6
	;; [unrolled: 1-line block ×8, first 2 shown]
	v_sub_f16_e32 v25, v23, v15
	v_sub_f16_e32 v6, v0, v6
	;; [unrolled: 1-line block ×5, first 2 shown]
	v_fma_f16 v15, v26, s0, v24
	v_fma_f16 v19, v25, s0, v27
	v_fma_f16 v10, v10, 2.0, -v24
	v_fma_f16 v20, v23, 2.0, -v25
	;; [unrolled: 1-line block ×4, first 2 shown]
	v_sub_f16_e32 v23, v17, v9
	v_fma_f16 v0, v0, 2.0, -v6
	v_fma_f16 v7, v7, 2.0, -v9
	;; [unrolled: 1-line block ×4, first 2 shown]
	v_fma_f16 v15, v25, s0, v15
	v_fma_f16 v19, v26, s1, v19
	;; [unrolled: 1-line block ×4, first 2 shown]
	v_sub_f16_e32 v7, v0, v7
	v_sub_f16_e32 v8, v9, v8
	v_add_f16_e32 v22, v6, v16
	v_fma_f16 v20, v20, s0, v25
	v_fma_f16 v5, v5, s1, v26
	v_fma_f16 v0, v0, 2.0, -v7
	v_fma_f16 v9, v9, 2.0, -v8
	;; [unrolled: 1-line block ×6, first 2 shown]
	v_pack_b32_f16 v0, v0, v9
	v_fma_f16 v16, v24, 2.0, -v15
	v_fma_f16 v18, v27, 2.0, -v19
	v_pack_b32_f16 v9, v10, v21
	ds_write_b32 v14, v0
	v_pack_b32_f16 v0, v6, v17
	ds_write2_b32 v13, v9, v0 offset0:56 offset1:112
	v_pack_b32_f16 v0, v16, v18
	v_pack_b32_f16 v6, v7, v8
	ds_write2_b32 v13, v0, v6 offset0:168 offset1:224
	v_pack_b32_f16 v0, v20, v5
	v_pack_b32_f16 v5, v22, v23
	v_add_u32_e32 v6, 0x400, v13
	ds_write2_b32 v6, v0, v5 offset0:24 offset1:80
	v_pack_b32_f16 v0, v15, v19
	ds_write_b32 v13, v0 offset:1568
.LBB0_19:
	s_or_b64 exec, exec, s[4:5]
	s_waitcnt lgkmcnt(0)
	s_barrier
	s_and_saveexec_b64 s[0:1], vcc
	s_cbranch_execz .LBB0_21
; %bb.20:
	v_mul_lo_u32 v8, s3, v3
	v_mul_lo_u32 v9, s2, v4
	v_mad_u64_u32 v[3:4], s[0:1], s2, v3, 0
	v_mad_u64_u32 v[5:6], s[0:1], s20, v11, 0
	v_add3_u32 v4, v4, v9, v8
	v_lshlrev_b64 v[3:4], 2, v[3:4]
	v_mov_b32_e32 v0, v6
	v_mad_u64_u32 v[6:7], s[0:1], s21, v11, v[0:1]
	v_mov_b32_e32 v0, s11
	v_add_co_u32_e32 v3, vcc, s10, v3
	v_addc_co_u32_e32 v4, vcc, v0, v4, vcc
	v_lshlrev_b64 v[0:1], 2, v[1:2]
	v_lshl_add_u32 v10, v11, 2, v12
	v_add_co_u32_e32 v14, vcc, v3, v0
	v_addc_co_u32_e32 v15, vcc, v4, v1, vcc
	v_add_u32_e32 v4, 64, v11
	v_mad_u64_u32 v[2:3], s[0:1], s20, v4, 0
	v_lshlrev_b64 v[0:1], 2, v[5:6]
	v_add_u32_e32 v16, 0x80, v11
	v_mad_u64_u32 v[3:4], s[0:1], s21, v4, v[3:4]
	ds_read2st64_b32 v[4:5], v10 offset1:1
	v_mad_u64_u32 v[6:7], s[0:1], s20, v16, 0
	v_add_co_u32_e32 v0, vcc, v14, v0
	v_addc_co_u32_e32 v1, vcc, v15, v1, vcc
	ds_read2st64_b32 v[8:9], v10 offset0:2 offset1:3
	ds_read2st64_b32 v[12:13], v10 offset0:4 offset1:5
	ds_read_b32 v10, v10 offset:1536
	s_waitcnt lgkmcnt(3)
	global_store_dword v[0:1], v4, off
	v_lshlrev_b64 v[0:1], 2, v[2:3]
	v_mov_b32_e32 v2, v7
	v_mad_u64_u32 v[2:3], s[0:1], s21, v16, v[2:3]
	v_add_u32_e32 v4, 0xc0, v11
	v_add_co_u32_e32 v0, vcc, v14, v0
	v_mov_b32_e32 v7, v2
	v_mad_u64_u32 v[2:3], s[0:1], s20, v4, 0
	v_addc_co_u32_e32 v1, vcc, v15, v1, vcc
	global_store_dword v[0:1], v5, off
	v_lshlrev_b64 v[0:1], 2, v[6:7]
	v_mad_u64_u32 v[3:4], s[0:1], s21, v4, v[3:4]
	v_add_u32_e32 v6, 0x100, v11
	v_mad_u64_u32 v[4:5], s[0:1], s20, v6, 0
	v_add_co_u32_e32 v0, vcc, v14, v0
	v_addc_co_u32_e32 v1, vcc, v15, v1, vcc
	s_waitcnt lgkmcnt(2)
	global_store_dword v[0:1], v8, off
	v_lshlrev_b64 v[0:1], 2, v[2:3]
	v_mov_b32_e32 v2, v5
	v_mad_u64_u32 v[2:3], s[0:1], s21, v6, v[2:3]
	v_add_co_u32_e32 v0, vcc, v14, v0
	v_addc_co_u32_e32 v1, vcc, v15, v1, vcc
	v_mov_b32_e32 v5, v2
	global_store_dword v[0:1], v9, off
	v_lshlrev_b64 v[0:1], 2, v[4:5]
	v_add_u32_e32 v4, 0x140, v11
	v_mad_u64_u32 v[2:3], s[0:1], s20, v4, 0
	v_add_u32_e32 v6, 0x180, v11
	v_add_co_u32_e32 v0, vcc, v14, v0
	v_mad_u64_u32 v[3:4], s[0:1], s21, v4, v[3:4]
	v_mad_u64_u32 v[4:5], s[0:1], s20, v6, 0
	v_addc_co_u32_e32 v1, vcc, v15, v1, vcc
	s_waitcnt lgkmcnt(1)
	global_store_dword v[0:1], v12, off
	v_lshlrev_b64 v[0:1], 2, v[2:3]
	v_mov_b32_e32 v2, v5
	v_mad_u64_u32 v[2:3], s[0:1], s21, v6, v[2:3]
	v_add_co_u32_e32 v0, vcc, v14, v0
	v_addc_co_u32_e32 v1, vcc, v15, v1, vcc
	v_mov_b32_e32 v5, v2
	global_store_dword v[0:1], v13, off
	v_lshlrev_b64 v[0:1], 2, v[4:5]
	v_add_co_u32_e32 v0, vcc, v14, v0
	v_addc_co_u32_e32 v1, vcc, v15, v1, vcc
	s_waitcnt lgkmcnt(0)
	global_store_dword v[0:1], v10, off
.LBB0_21:
	s_endpgm
	.section	.rodata,"a",@progbits
	.p2align	6, 0x0
	.amdhsa_kernel fft_rtc_back_len448_factors_8_7_8_wgs_128_tpt_64_half_op_CI_CI_sbrr_dirReg
		.amdhsa_group_segment_fixed_size 0
		.amdhsa_private_segment_fixed_size 0
		.amdhsa_kernarg_size 104
		.amdhsa_user_sgpr_count 6
		.amdhsa_user_sgpr_private_segment_buffer 1
		.amdhsa_user_sgpr_dispatch_ptr 0
		.amdhsa_user_sgpr_queue_ptr 0
		.amdhsa_user_sgpr_kernarg_segment_ptr 1
		.amdhsa_user_sgpr_dispatch_id 0
		.amdhsa_user_sgpr_flat_scratch_init 0
		.amdhsa_user_sgpr_private_segment_size 0
		.amdhsa_uses_dynamic_stack 0
		.amdhsa_system_sgpr_private_segment_wavefront_offset 0
		.amdhsa_system_sgpr_workgroup_id_x 1
		.amdhsa_system_sgpr_workgroup_id_y 0
		.amdhsa_system_sgpr_workgroup_id_z 0
		.amdhsa_system_sgpr_workgroup_info 0
		.amdhsa_system_vgpr_workitem_id 0
		.amdhsa_next_free_vgpr 41
		.amdhsa_next_free_sgpr 32
		.amdhsa_reserve_vcc 1
		.amdhsa_reserve_flat_scratch 0
		.amdhsa_float_round_mode_32 0
		.amdhsa_float_round_mode_16_64 0
		.amdhsa_float_denorm_mode_32 3
		.amdhsa_float_denorm_mode_16_64 3
		.amdhsa_dx10_clamp 1
		.amdhsa_ieee_mode 1
		.amdhsa_fp16_overflow 0
		.amdhsa_exception_fp_ieee_invalid_op 0
		.amdhsa_exception_fp_denorm_src 0
		.amdhsa_exception_fp_ieee_div_zero 0
		.amdhsa_exception_fp_ieee_overflow 0
		.amdhsa_exception_fp_ieee_underflow 0
		.amdhsa_exception_fp_ieee_inexact 0
		.amdhsa_exception_int_div_zero 0
	.end_amdhsa_kernel
	.text
.Lfunc_end0:
	.size	fft_rtc_back_len448_factors_8_7_8_wgs_128_tpt_64_half_op_CI_CI_sbrr_dirReg, .Lfunc_end0-fft_rtc_back_len448_factors_8_7_8_wgs_128_tpt_64_half_op_CI_CI_sbrr_dirReg
                                        ; -- End function
	.section	.AMDGPU.csdata,"",@progbits
; Kernel info:
; codeLenInByte = 4612
; NumSgprs: 36
; NumVgprs: 41
; ScratchSize: 0
; MemoryBound: 0
; FloatMode: 240
; IeeeMode: 1
; LDSByteSize: 0 bytes/workgroup (compile time only)
; SGPRBlocks: 4
; VGPRBlocks: 10
; NumSGPRsForWavesPerEU: 36
; NumVGPRsForWavesPerEU: 41
; Occupancy: 5
; WaveLimiterHint : 1
; COMPUTE_PGM_RSRC2:SCRATCH_EN: 0
; COMPUTE_PGM_RSRC2:USER_SGPR: 6
; COMPUTE_PGM_RSRC2:TRAP_HANDLER: 0
; COMPUTE_PGM_RSRC2:TGID_X_EN: 1
; COMPUTE_PGM_RSRC2:TGID_Y_EN: 0
; COMPUTE_PGM_RSRC2:TGID_Z_EN: 0
; COMPUTE_PGM_RSRC2:TIDIG_COMP_CNT: 0
	.type	__hip_cuid_d0892e7f493c2c5e,@object ; @__hip_cuid_d0892e7f493c2c5e
	.section	.bss,"aw",@nobits
	.globl	__hip_cuid_d0892e7f493c2c5e
__hip_cuid_d0892e7f493c2c5e:
	.byte	0                               ; 0x0
	.size	__hip_cuid_d0892e7f493c2c5e, 1

	.ident	"AMD clang version 19.0.0git (https://github.com/RadeonOpenCompute/llvm-project roc-6.4.0 25133 c7fe45cf4b819c5991fe208aaa96edf142730f1d)"
	.section	".note.GNU-stack","",@progbits
	.addrsig
	.addrsig_sym __hip_cuid_d0892e7f493c2c5e
	.amdgpu_metadata
---
amdhsa.kernels:
  - .args:
      - .actual_access:  read_only
        .address_space:  global
        .offset:         0
        .size:           8
        .value_kind:     global_buffer
      - .offset:         8
        .size:           8
        .value_kind:     by_value
      - .actual_access:  read_only
        .address_space:  global
        .offset:         16
        .size:           8
        .value_kind:     global_buffer
      - .actual_access:  read_only
        .address_space:  global
        .offset:         24
        .size:           8
        .value_kind:     global_buffer
      - .actual_access:  read_only
        .address_space:  global
        .offset:         32
        .size:           8
        .value_kind:     global_buffer
      - .offset:         40
        .size:           8
        .value_kind:     by_value
      - .actual_access:  read_only
        .address_space:  global
        .offset:         48
        .size:           8
        .value_kind:     global_buffer
      - .actual_access:  read_only
        .address_space:  global
        .offset:         56
        .size:           8
        .value_kind:     global_buffer
      - .offset:         64
        .size:           4
        .value_kind:     by_value
      - .actual_access:  read_only
        .address_space:  global
        .offset:         72
        .size:           8
        .value_kind:     global_buffer
      - .actual_access:  read_only
        .address_space:  global
        .offset:         80
        .size:           8
        .value_kind:     global_buffer
      - .actual_access:  read_only
        .address_space:  global
        .offset:         88
        .size:           8
        .value_kind:     global_buffer
      - .actual_access:  write_only
        .address_space:  global
        .offset:         96
        .size:           8
        .value_kind:     global_buffer
    .group_segment_fixed_size: 0
    .kernarg_segment_align: 8
    .kernarg_segment_size: 104
    .language:       OpenCL C
    .language_version:
      - 2
      - 0
    .max_flat_workgroup_size: 128
    .name:           fft_rtc_back_len448_factors_8_7_8_wgs_128_tpt_64_half_op_CI_CI_sbrr_dirReg
    .private_segment_fixed_size: 0
    .sgpr_count:     36
    .sgpr_spill_count: 0
    .symbol:         fft_rtc_back_len448_factors_8_7_8_wgs_128_tpt_64_half_op_CI_CI_sbrr_dirReg.kd
    .uniform_work_group_size: 1
    .uses_dynamic_stack: false
    .vgpr_count:     41
    .vgpr_spill_count: 0
    .wavefront_size: 64
amdhsa.target:   amdgcn-amd-amdhsa--gfx906
amdhsa.version:
  - 1
  - 2
...

	.end_amdgpu_metadata
